;; amdgpu-corpus repo=ROCm/rocFFT kind=compiled arch=gfx1201 opt=O3
	.text
	.amdgcn_target "amdgcn-amd-amdhsa--gfx1201"
	.amdhsa_code_object_version 6
	.protected	fft_rtc_back_len192_factors_2_8_6_2_wgs_64_tpt_16_dim3_dp_op_CI_CI_sbrc_aligned_dirReg ; -- Begin function fft_rtc_back_len192_factors_2_8_6_2_wgs_64_tpt_16_dim3_dp_op_CI_CI_sbrc_aligned_dirReg
	.globl	fft_rtc_back_len192_factors_2_8_6_2_wgs_64_tpt_16_dim3_dp_op_CI_CI_sbrc_aligned_dirReg
	.p2align	8
	.type	fft_rtc_back_len192_factors_2_8_6_2_wgs_64_tpt_16_dim3_dp_op_CI_CI_sbrc_aligned_dirReg,@function
fft_rtc_back_len192_factors_2_8_6_2_wgs_64_tpt_16_dim3_dp_op_CI_CI_sbrc_aligned_dirReg: ; @fft_rtc_back_len192_factors_2_8_6_2_wgs_64_tpt_16_dim3_dp_op_CI_CI_sbrc_aligned_dirReg
; %bb.0:
	s_clause 0x1
	s_load_b256 s[12:19], s[0:1], 0x0
	s_load_b64 s[26:27], s[0:1], 0x50
	s_mov_b32 s2, ttmp9
	s_wait_kmcnt 0x0
	s_load_b128 s[4:7], s[14:15], 0x8
	s_load_b128 s[20:23], s[16:17], 0x0
	s_wait_kmcnt 0x0
	s_add_co_i32 s3, s4, -1
	s_delay_alu instid0(SALU_CYCLE_1) | instskip(NEXT) | instid1(SALU_CYCLE_1)
	s_lshr_b32 s28, s3, 2
	s_add_co_i32 s28, s28, 1
	s_delay_alu instid0(SALU_CYCLE_1) | instskip(SKIP_1) | instid1(SALU_CYCLE_2)
	s_cvt_f32_u32 s3, s28
	s_sub_co_i32 s4, 0, s28
	v_rcp_iflag_f32_e32 v1, s3
	s_delay_alu instid0(TRANS32_DEP_1) | instskip(NEXT) | instid1(VALU_DEP_1)
	v_readfirstlane_b32 s3, v1
	s_mul_f32 s3, s3, 0x4f7ffffe
	s_wait_alu 0xfffe
	s_delay_alu instid0(SALU_CYCLE_2) | instskip(SKIP_1) | instid1(SALU_CYCLE_2)
	s_cvt_u32_f32 s3, s3
	s_wait_alu 0xfffe
	s_mul_i32 s4, s4, s3
	s_delay_alu instid0(SALU_CYCLE_1) | instskip(NEXT) | instid1(SALU_CYCLE_1)
	s_mul_hi_u32 s4, s3, s4
	s_add_co_i32 s3, s3, s4
	s_wait_alu 0xfffe
	s_mul_hi_u32 s3, ttmp9, s3
	s_wait_alu 0xfffe
	s_mul_i32 s4, s3, s28
	s_add_co_i32 s5, s3, 1
	s_sub_co_i32 s4, ttmp9, s4
	s_delay_alu instid0(SALU_CYCLE_1)
	s_sub_co_i32 s8, s4, s28
	s_cmp_ge_u32 s4, s28
	s_cselect_b32 s5, s5, s3
	s_cselect_b32 s3, s8, s4
	s_add_co_i32 s4, s5, 1
	s_wait_alu 0xfffe
	s_cmp_ge_u32 s3, s28
	s_mov_b32 s3, 0
	s_cselect_b32 s24, s4, s5
	s_wait_alu 0xfffe
	s_mov_b32 s25, s3
	s_delay_alu instid0(SALU_CYCLE_1) | instskip(SKIP_1) | instid1(VALU_DEP_1)
	v_cmp_lt_u64_e64 s4, s[24:25], s[6:7]
	s_mov_b64 s[14:15], s[24:25]
	s_and_b32 vcc_lo, exec_lo, s4
	s_cbranch_vccnz .LBB0_2
; %bb.1:
	v_cvt_f32_u32_e32 v1, s6
	s_sub_co_i32 s5, 0, s6
	s_mov_b32 s15, s3
	s_delay_alu instid0(VALU_DEP_1) | instskip(NEXT) | instid1(TRANS32_DEP_1)
	v_rcp_iflag_f32_e32 v1, v1
	v_mul_f32_e32 v1, 0x4f7ffffe, v1
	s_delay_alu instid0(VALU_DEP_1) | instskip(NEXT) | instid1(VALU_DEP_1)
	v_cvt_u32_f32_e32 v1, v1
	v_readfirstlane_b32 s4, v1
	s_delay_alu instid0(VALU_DEP_1) | instskip(NEXT) | instid1(SALU_CYCLE_1)
	s_mul_i32 s5, s5, s4
	s_mul_hi_u32 s5, s4, s5
	s_delay_alu instid0(SALU_CYCLE_1) | instskip(NEXT) | instid1(SALU_CYCLE_1)
	s_add_co_i32 s4, s4, s5
	s_mul_hi_u32 s4, s24, s4
	s_delay_alu instid0(SALU_CYCLE_1) | instskip(NEXT) | instid1(SALU_CYCLE_1)
	s_mul_i32 s4, s4, s6
	s_sub_co_i32 s4, s24, s4
	s_delay_alu instid0(SALU_CYCLE_1) | instskip(SKIP_2) | instid1(SALU_CYCLE_1)
	s_sub_co_i32 s5, s4, s6
	s_cmp_ge_u32 s4, s6
	s_cselect_b32 s4, s5, s4
	s_sub_co_i32 s5, s4, s6
	s_cmp_ge_u32 s4, s6
	s_cselect_b32 s14, s5, s4
.LBB0_2:
	s_mul_i32 s23, s28, s6
	v_or_b32_e32 v8, 0xc0, v0
	s_cvt_f32_u32 s25, s23
	v_or_b32_e32 v49, 64, v0
	v_or_b32_e32 v50, 0x80, v0
	v_mad_co_u64_u32 v[1:2], null, s20, v0, 0
	s_wait_alu 0xfffe
	v_rcp_iflag_f32_e32 v3, s25
	v_and_b32_e32 v5, 0xffff, v8
	v_and_b32_e32 v9, 0xffff, v49
	s_load_b256 s[4:11], s[18:19], 0x0
	s_wait_kmcnt 0x0
	s_mul_i32 s7, s24, s28
	v_dual_mov_b32 v26, 0 :: v_dual_and_b32 v11, 0xffff, v50
	v_mul_u32_u24_e32 v7, 0x156, v5
	s_wait_alu 0xfffe
	s_sub_co_i32 s7, ttmp9, s7
	s_sub_co_i32 s30, 0, s23
	v_readfirstlane_b32 s25, v3
	v_mad_co_u64_u32 v[3:4], null, s20, v9, 0
	v_lshrrev_b32_e32 v51, 16, v7
	s_wait_alu 0xfffe
	s_lshl_b32 s24, s7, 2
	s_mul_f32 s7, s25, 0x4f7ffffe
	s_load_b128 s[16:19], s[16:17], 0x10
	v_or_b32_e32 v15, 0x100, v0
	v_mul_lo_u16 v10, 0xc0, v51
	v_mad_co_u64_u32 v[5:6], null, s21, v0, v[2:3]
	v_mad_co_u64_u32 v[6:7], null, s20, v11, 0
	s_delay_alu instid0(VALU_DEP_3) | instskip(SKIP_3) | instid1(VALU_DEP_4)
	v_sub_nc_u16 v52, v8, v10
	s_cvt_u32_f32 s7, s7
	s_mov_b32 s31, s3
	v_or_b32_e32 v16, 0x140, v0
	v_mov_b32_e32 v2, v5
	s_wait_alu 0xfffe
	s_mul_i32 s30, s30, s7
	v_and_b32_e32 v12, 0xffff, v52
	v_mad_co_u64_u32 v[4:5], null, s21, v9, v[4:5]
	v_mov_b32_e32 v5, v7
	s_mul_hi_u32 s25, s7, s30
	s_delay_alu instid0(VALU_DEP_3)
	v_mad_co_u64_u32 v[9:10], null, s20, v12, 0
	s_wait_alu 0xfffe
	s_add_co_i32 s30, s7, s25
	v_mad_co_u64_u32 v[7:8], null, s21, v11, v[5:6]
	s_mul_u64 s[30:31], s[2:3], s[30:31]
	v_and_b32_e32 v8, 0xffff, v15
	s_mul_i32 s2, s31, s23
	s_delay_alu instid0(VALU_DEP_3)
	v_mov_b32_e32 v5, v10
	s_wait_alu 0xfffe
	s_sub_co_i32 s2, ttmp9, s2
	s_add_co_i32 s7, s31, 1
	s_wait_alu 0xfffe
	s_sub_co_i32 s25, s2, s23
	s_cmp_ge_u32 s2, s23
	v_mul_u32_u24_e32 v8, 0x156, v8
	s_cselect_b32 s7, s7, s31
	s_wait_alu 0xfffe
	s_cselect_b32 s2, s25, s2
	s_add_co_i32 s25, s7, 1
	s_wait_alu 0xfffe
	s_cmp_ge_u32 s2, s23
	v_lshrrev_b32_e32 v53, 16, v8
	s_cselect_b32 s2, s25, s7
	s_wait_kmcnt 0x0
	s_mul_u64 s[16:17], s[16:17], s[14:15]
	s_wait_alu 0xfffe
	s_mul_u64 s[18:19], s[18:19], s[2:3]
	s_mov_b32 s29, s3
	v_mul_lo_u16 v17, 0xc0, v53
	s_lshl_b64 s[18:19], s[18:19], 4
	s_mul_i32 s28, s24, s22
	v_lshlrev_b64_e32 v[1:2], 4, v[1:2]
	s_lshl_b64 s[16:17], s[16:17], 4
	s_add_nc_u64 s[18:19], s[26:27], s[18:19]
	v_mad_co_u64_u32 v[10:11], null, s21, v12, v[5:6]
	v_and_b32_e32 v5, 0xffff, v16
	s_lshl_b64 s[26:27], s[28:29], 4
	s_add_nc_u64 s[16:17], s[18:19], s[16:17]
	v_sub_nc_u16 v54, v15, v17
	v_lshlrev_b64_e32 v[3:4], 4, v[3:4]
	s_add_nc_u64 s[16:17], s[16:17], s[26:27]
	v_mul_u32_u24_e32 v18, 0x156, v5
	v_add_co_u32 v1, vcc_lo, s16, v1
	v_and_b32_e32 v15, 0xffff, v54
	v_add_co_ci_u32_e32 v2, vcc_lo, s17, v2, vcc_lo
	v_add_co_u32 v11, vcc_lo, s16, v3
	v_lshlrev_b64_e32 v[13:14], 4, v[6:7]
	v_lshrrev_b32_e32 v55, 16, v18
	s_wait_alu 0xfffd
	v_add_co_ci_u32_e32 v12, vcc_lo, s17, v4, vcc_lo
	v_mad_co_u64_u32 v[17:18], null, s20, v15, 0
	v_lshlrev_b64_e32 v[9:10], 4, v[9:10]
	s_clause 0x1
	global_load_b128 v[1:4], v[1:2], off
	global_load_b128 v[5:8], v[11:12], off
	v_add_co_u32 v11, vcc_lo, s16, v13
	v_mul_lo_u16 v13, 0xc0, v55
	v_or_b32_e32 v23, 0x180, v0
	s_wait_alu 0xfffd
	v_add_co_ci_u32_e32 v12, vcc_lo, s17, v14, vcc_lo
	v_mul_lo_u32 v25, s22, v51
	v_sub_nc_u16 v56, v16, v13
	v_add_co_u32 v16, vcc_lo, s16, v9
	v_dual_mov_b32 v9, v18 :: v_dual_and_b32 v18, 0xffff, v23
	s_wait_alu 0xfffd
	v_add_co_ci_u32_e32 v21, vcc_lo, s17, v10, vcc_lo
	v_and_b32_e32 v22, 0xffff, v56
	s_delay_alu instid0(VALU_DEP_3) | instskip(SKIP_2) | instid1(VALU_DEP_4)
	v_mad_co_u64_u32 v[9:10], null, s21, v15, v[9:10]
	v_mul_u32_u24_e32 v10, 0x156, v18
	v_lshlrev_b64_e32 v[13:14], 4, v[25:26]
	v_mad_co_u64_u32 v[19:20], null, s20, v22, 0
	v_mul_lo_u32 v25, s22, v53
	s_delay_alu instid0(VALU_DEP_4)
	v_lshrrev_b32_e32 v57, 16, v10
	v_mov_b32_e32 v18, v9
	v_add_co_u32 v13, vcc_lo, v16, v13
	s_wait_alu 0xfffd
	v_add_co_ci_u32_e32 v14, vcc_lo, v21, v14, vcc_lo
	v_mul_lo_u16 v24, 0xc0, v57
	v_lshlrev_b64_e32 v[17:18], 4, v[17:18]
	v_mad_co_u64_u32 v[20:21], null, s21, v22, v[20:21]
	v_lshlrev_b64_e32 v[21:22], 4, v[25:26]
	s_delay_alu instid0(VALU_DEP_4) | instskip(SKIP_4) | instid1(VALU_DEP_3)
	v_sub_nc_u16 v58, v23, v24
	v_or_b32_e32 v24, 0x1c0, v0
	v_add_co_u32 v17, vcc_lo, s16, v17
	s_wait_alu 0xfffd
	v_add_co_ci_u32_e32 v18, vcc_lo, s17, v18, vcc_lo
	v_and_b32_e32 v25, 0xffff, v24
	v_and_b32_e32 v23, 0xffff, v58
	v_add_co_u32 v17, vcc_lo, v17, v21
	v_lshlrev_b64_e32 v[19:20], 4, v[19:20]
	s_delay_alu instid0(VALU_DEP_4)
	v_mul_u32_u24_e32 v21, 0x156, v25
	v_mul_lo_u32 v25, s22, v55
	v_mad_co_u64_u32 v[27:28], null, s20, v23, 0
	s_wait_alu 0xfffd
	v_add_co_ci_u32_e32 v18, vcc_lo, v18, v22, vcc_lo
	v_lshrrev_b32_e32 v59, 16, v21
	v_add_co_u32 v29, vcc_lo, s16, v19
	s_wait_alu 0xfffd
	v_add_co_ci_u32_e32 v30, vcc_lo, s17, v20, vcc_lo
	v_lshlrev_b64_e32 v[20:21], 4, v[25:26]
	v_mov_b32_e32 v19, v28
	v_or_b32_e32 v31, 0x200, v0
	v_mul_lo_u16 v28, 0xc0, v59
	v_mul_lo_u32 v25, s22, v57
	v_or_b32_e32 v36, 0x240, v0
	v_mad_co_u64_u32 v[22:23], null, s21, v23, v[19:20]
	v_and_b32_e32 v32, 0xffff, v31
	v_sub_nc_u16 v60, v24, v28
	v_add_co_u32 v23, vcc_lo, v29, v20
	s_wait_alu 0xfffd
	v_add_co_ci_u32_e32 v24, vcc_lo, v30, v21, vcc_lo
	v_mul_u32_u24_e32 v19, 0x2ab, v32
	v_and_b32_e32 v32, 0xffff, v60
	v_mov_b32_e32 v28, v22
	v_or_b32_e32 v38, 0x280, v0
	v_or_b32_e32 v39, 0x2c0, v0
	v_lshrrev_b32_e32 v61, 17, v19
	v_mad_co_u64_u32 v[29:30], null, s20, v32, 0
	v_lshlrev_b64_e32 v[27:28], 4, v[27:28]
	s_clause 0x1
	global_load_b128 v[9:12], v[11:12], off
	global_load_b128 v[13:16], v[13:14], off
	v_mul_lo_u16 v33, 0xc0, v61
	s_clause 0x1
	global_load_b128 v[17:20], v[17:18], off
	global_load_b128 v[21:24], v[23:24], off
	v_lshlrev_b16 v52, 2, v52
	v_lshlrev_b16 v54, 2, v54
	v_add_co_u32 v34, vcc_lo, s16, v27
	v_mov_b32_e32 v27, v30
	v_sub_nc_u16 v62, v31, v33
	v_lshlrev_b64_e32 v[30:31], 4, v[25:26]
	s_wait_alu 0xfffd
	v_add_co_ci_u32_e32 v35, vcc_lo, s17, v28, vcc_lo
	v_mad_co_u64_u32 v[27:28], null, s21, v32, v[27:28]
	v_and_b32_e32 v37, 0xffff, v62
	v_and_b32_e32 v25, 0xffff, v36
	v_add_co_u32 v34, vcc_lo, v34, v30
	s_wait_alu 0xfffd
	v_add_co_ci_u32_e32 v35, vcc_lo, v35, v31, vcc_lo
	v_and_b32_e32 v31, 0xffff, v38
	v_mad_co_u64_u32 v[32:33], null, s20, v37, 0
	v_mul_u32_u24_e32 v28, 0x2ab, v25
	v_mov_b32_e32 v30, v27
	s_delay_alu instid0(VALU_DEP_4)
	v_mul_u32_u24_e32 v31, 0x2ab, v31
	v_mul_lo_u32 v25, s22, v59
	v_lshlrev_b16 v69, 2, v0
	v_lshrrev_b32_e32 v63, 17, v28
	v_lshlrev_b64_e32 v[27:28], 4, v[29:30]
	v_mov_b32_e32 v29, v33
	v_lshrrev_b32_e32 v65, 17, v31
	v_lshrrev_b32_e32 v95, 2, v0
	v_mul_lo_u16 v33, 0xc0, v63
	v_and_b32_e32 v93, 3, v0
	v_add_co_u32 v31, vcc_lo, s16, v27
	v_mad_co_u64_u32 v[29:30], null, s21, v37, v[29:30]
	s_wait_alu 0xfffd
	v_add_co_ci_u32_e32 v37, vcc_lo, s17, v28, vcc_lo
	v_lshlrev_b64_e32 v[27:28], 4, v[25:26]
	v_mul_lo_u16 v25, 0xc0, v65
	v_and_b32_e32 v40, 0xffff, v39
	v_sub_nc_u16 v64, v36, v33
	v_mov_b32_e32 v33, v29
	v_lshlrev_b16 v56, 2, v56
	v_sub_nc_u16 v67, v38, v25
	v_mul_u32_u24_e32 v30, 0x2ab, v40
	v_add_co_u32 v36, vcc_lo, v31, v27
	s_wait_alu 0xfffd
	v_add_co_ci_u32_e32 v37, vcc_lo, v37, v28, vcc_lo
	v_and_b32_e32 v41, 0xffff, v67
	v_lshlrev_b64_e32 v[27:28], 4, v[32:33]
	v_lshrrev_b32_e32 v66, 17, v30
	v_lshlrev_b16 v58, 2, v58
	v_lshlrev_b16 v60, 2, v60
	v_mad_co_u64_u32 v[31:32], null, s20, v41, 0
	v_and_b32_e32 v40, 0xffff, v64
	v_mul_lo_u16 v25, 0xc0, v66
	v_add_co_u32 v42, vcc_lo, s16, v27
	s_wait_alu 0xfffd
	v_add_co_ci_u32_e32 v43, vcc_lo, s17, v28, vcc_lo
	v_mov_b32_e32 v27, v32
	v_mad_co_u64_u32 v[29:30], null, s20, v40, 0
	v_sub_nc_u16 v68, v39, v25
	v_mul_lo_u32 v25, s22, v61
	s_delay_alu instid0(VALU_DEP_4) | instskip(SKIP_1) | instid1(VALU_DEP_4)
	v_mad_co_u64_u32 v[27:28], null, s21, v41, v[27:28]
	v_lshlrev_b16 v62, 2, v62
	v_and_b32_e32 v45, 0xffff, v68
	v_mad_co_u64_u32 v[38:39], null, s21, v40, v[30:31]
	v_lshlrev_b16 v64, 2, v64
	v_lshlrev_b64_e32 v[32:33], 4, v[25:26]
	s_delay_alu instid0(VALU_DEP_4)
	v_mad_co_u64_u32 v[39:40], null, s20, v45, 0
	v_mul_lo_u32 v25, s22, v63
	v_lshlrev_b16 v67, 2, v67
	v_mov_b32_e32 v30, v38
	v_add_co_u32 v41, vcc_lo, v42, v32
	s_wait_alu 0xfffd
	v_add_co_ci_u32_e32 v42, vcc_lo, v43, v33, vcc_lo
	s_delay_alu instid0(VALU_DEP_3)
	v_lshlrev_b64_e32 v[29:30], 4, v[29:30]
	v_mov_b32_e32 v28, v40
	v_lshlrev_b64_e32 v[43:44], 4, v[25:26]
	v_mul_lo_u32 v25, s22, v65
	v_mov_b32_e32 v32, v27
	v_lshlrev_b16 v68, 2, v68
	v_mad_co_u64_u32 v[45:46], null, s21, v45, v[28:29]
	v_add_co_u32 v29, vcc_lo, s16, v29
	s_wait_alu 0xfffd
	v_add_co_ci_u32_e32 v30, vcc_lo, s17, v30, vcc_lo
	v_lshlrev_b64_e32 v[27:28], 4, v[31:32]
	s_delay_alu instid0(VALU_DEP_3)
	v_add_co_u32 v43, vcc_lo, v29, v43
	v_mov_b32_e32 v40, v45
	s_wait_alu 0xfffd
	v_add_co_ci_u32_e32 v44, vcc_lo, v30, v44, vcc_lo
	v_lshlrev_b64_e32 v[29:30], 4, v[25:26]
	v_mul_lo_u32 v25, s22, v66
	v_lshlrev_b64_e32 v[31:32], 4, v[39:40]
	v_add_co_u32 v27, vcc_lo, s16, v27
	s_wait_alu 0xfffd
	v_add_co_ci_u32_e32 v28, vcc_lo, s17, v28, vcc_lo
	v_lshlrev_b16 v49, 2, v49
	s_delay_alu instid0(VALU_DEP_4)
	v_add_co_u32 v31, vcc_lo, s16, v31
	v_lshlrev_b64_e32 v[25:26], 4, v[25:26]
	s_wait_alu 0xfffd
	v_add_co_ci_u32_e32 v32, vcc_lo, s17, v32, vcc_lo
	v_add_co_u32 v45, vcc_lo, v27, v29
	s_wait_alu 0xfffd
	v_add_co_ci_u32_e32 v46, vcc_lo, v28, v30, vcc_lo
	v_add_co_u32 v47, vcc_lo, v31, v25
	s_wait_alu 0xfffd
	v_add_co_ci_u32_e32 v48, vcc_lo, v32, v26, vcc_lo
	s_clause 0x5
	global_load_b128 v[25:28], v[34:35], off
	global_load_b128 v[29:32], v[36:37], off
	;; [unrolled: 1-line block ×6, first 2 shown]
	v_lshlrev_b16 v50, 2, v50
	v_or_b32_e32 v51, v52, v51
	v_or_b32_e32 v52, v54, v53
	v_and_b32_e32 v69, 0xffff, v69
	v_lshlrev_b32_e32 v70, 6, v95
	v_lshlrev_b32_e32 v94, 4, v93
	v_or_b32_e32 v53, v56, v55
	v_or_b32_e32 v54, v58, v57
	;; [unrolled: 1-line block ×7, first 2 shown]
	v_and_b32_e32 v49, 0xffff, v49
	v_and_b32_e32 v50, 0xffff, v50
	;; [unrolled: 1-line block ×4, first 2 shown]
	v_lshl_add_u32 v69, v69, 4, 0
	v_add3_u32 v96, 0, v70, v94
	v_and_b32_e32 v53, 0xffff, v53
	v_and_b32_e32 v54, 0xffff, v54
	;; [unrolled: 1-line block ×7, first 2 shown]
	v_lshl_add_u32 v49, v49, 4, 0
	v_lshl_add_u32 v50, v50, 4, 0
	;; [unrolled: 1-line block ×11, first 2 shown]
	v_or_b32_e32 v97, 48, v95
	v_or_b32_e32 v101, 16, v95
	;; [unrolled: 1-line block ×5, first 2 shown]
	v_cmp_gt_u32_e32 vcc_lo, 32, v0
	v_lshlrev_b32_e32 v104, 6, v101
	s_wait_loadcnt 0xb
	ds_store_b128 v69, v[1:4]
	s_wait_loadcnt 0xa
	ds_store_b128 v49, v[5:8]
	;; [unrolled: 2-line block ×12, first 2 shown]
	global_wb scope:SCOPE_SE
	s_wait_dscnt 0x0
	s_barrier_signal -1
	s_barrier_wait -1
	global_inv scope:SCOPE_SE
	ds_load_b128 v[1:4], v96 offset:6144
	ds_load_b128 v[9:12], v96
	ds_load_b128 v[13:16], v96 offset:1024
	ds_load_b128 v[5:8], v96 offset:7168
	ds_load_b128 v[17:20], v96 offset:8192
	ds_load_b128 v[21:24], v96 offset:2048
	ds_load_b128 v[25:28], v96 offset:3072
	ds_load_b128 v[29:32], v96 offset:9216
	ds_load_b128 v[33:36], v96 offset:10240
	ds_load_b128 v[37:40], v96 offset:4096
	ds_load_b128 v[41:44], v96 offset:5120
	ds_load_b128 v[45:48], v96 offset:11264
	global_wb scope:SCOPE_SE
	s_wait_dscnt 0x0
	s_barrier_signal -1
	s_barrier_wait -1
	global_inv scope:SCOPE_SE
	v_add_f64_e64 v[49:50], v[9:10], -v[1:2]
	v_add_f64_e64 v[51:52], v[11:12], -v[3:4]
	;; [unrolled: 1-line block ×12, first 2 shown]
	v_fma_f64 v[33:34], v[9:10], 2.0, -v[49:50]
	v_fma_f64 v[35:36], v[11:12], 2.0, -v[51:52]
	;; [unrolled: 1-line block ×12, first 2 shown]
	v_and_b32_e32 v37, 60, v0
	v_lshlrev_b32_e32 v40, 7, v97
	v_lshlrev_b32_e32 v38, 7, v101
	;; [unrolled: 1-line block ×6, first 2 shown]
	v_add_nc_u32_e32 v43, v96, v70
	v_add3_u32 v40, 0, v40, v94
	v_add3_u32 v38, 0, v38, v94
	;; [unrolled: 1-line block ×3, first 2 shown]
	v_lshlrev_b32_e32 v37, 6, v97
	v_add3_u32 v39, 0, v39, v94
	v_add3_u32 v41, 0, v41, v94
	;; [unrolled: 1-line block ×3, first 2 shown]
	ds_store_b128 v43, v[33:36]
	ds_store_b128 v43, v[49:52] offset:64
	ds_store_b128 v38, v[45:48]
	ds_store_b128 v38, v[53:56] offset:64
	;; [unrolled: 2-line block ×6, first 2 shown]
	v_sub_nc_u32_e32 v103, v40, v37
	global_wb scope:SCOPE_SE
	s_wait_dscnt 0x0
	s_barrier_signal -1
	s_barrier_wait -1
	global_inv scope:SCOPE_SE
	ds_load_b128 v[33:36], v102
	ds_load_b128 v[69:72], v102 offset:1536
	ds_load_b128 v[49:52], v102 offset:4608
	ds_load_b128 v[61:64], v102 offset:6144
	ds_load_b128 v[57:60], v102 offset:7680
	ds_load_b128 v[65:68], v102 offset:9216
	ds_load_b128 v[73:76], v103
	ds_load_b128 v[53:56], v102 offset:10752
                                        ; implicit-def: $vgpr19_vgpr20
                                        ; implicit-def: $vgpr27_vgpr28
                                        ; implicit-def: $vgpr31_vgpr32
                                        ; implicit-def: $vgpr23_vgpr24
	s_and_saveexec_b32 s7, vcc_lo
	s_cbranch_execz .LBB0_4
; %bb.3:
	v_add3_u32 v13, 0, v104, v94
	ds_load_b128 v[1:4], v102 offset:2560
	ds_load_b128 v[9:12], v102 offset:4096
	;; [unrolled: 1-line block ×6, first 2 shown]
	ds_load_b128 v[13:16], v13
	ds_load_b128 v[29:32], v102 offset:11776
.LBB0_4:
	s_wait_alu 0xfffe
	s_or_b32 exec_lo, exec_lo, s7
	v_bfe_u32 v0, v0, 2, 1
	s_mov_b32 s16, 0x667f3bcd
	s_mov_b32 s17, 0xbfe6a09e
	s_mov_b32 s19, 0x3fe6a09e
	s_wait_alu 0xfffe
	s_mov_b32 s18, s16
	v_mul_u32_u24_e32 v37, 7, v0
	s_load_b64 s[0:1], s[0:1], 0x58
	s_mov_b32 s25, 0
	s_delay_alu instid0(VALU_DEP_1)
	v_lshlrev_b32_e32 v85, 4, v37
	s_clause 0x6
	global_load_b128 v[45:48], v85, s[12:13]
	global_load_b128 v[41:44], v85, s[12:13] offset:16
	global_load_b128 v[37:40], v85, s[12:13] offset:48
	;; [unrolled: 1-line block ×6, first 2 shown]
	global_wb scope:SCOPE_SE
	s_wait_loadcnt_dscnt 0x0
	s_wait_kmcnt 0x0
	s_barrier_signal -1
	s_barrier_wait -1
	global_inv scope:SCOPE_SE
	v_mul_f64_e32 v[105:106], v[71:72], v[47:48]
	v_mul_f64_e32 v[107:108], v[69:70], v[47:48]
	;; [unrolled: 1-line block ×14, first 2 shown]
	v_fma_f64 v[69:70], v[69:70], v[45:46], v[105:106]
	v_fma_f64 v[71:72], v[71:72], v[45:46], -v[107:108]
	v_fma_f64 v[73:74], v[73:74], v[41:42], v[109:110]
	v_fma_f64 v[75:76], v[75:76], v[41:42], -v[111:112]
	;; [unrolled: 2-line block ×7, first 2 shown]
	v_add_f64_e64 v[61:62], v[33:34], -v[61:62]
	v_add_f64_e64 v[63:64], v[35:36], -v[63:64]
	;; [unrolled: 1-line block ×8, first 2 shown]
	v_fma_f64 v[33:34], v[33:34], 2.0, -v[61:62]
	v_fma_f64 v[35:36], v[35:36], 2.0, -v[63:64]
	;; [unrolled: 1-line block ×6, first 2 shown]
	v_add_f64_e32 v[67:68], v[61:62], v[67:68]
	v_add_f64_e64 v[105:106], v[63:64], -v[65:66]
	v_fma_f64 v[49:50], v[49:50], 2.0, -v[53:54]
	v_fma_f64 v[51:52], v[51:52], 2.0, -v[55:56]
	v_add_f64_e32 v[55:56], v[57:58], v[55:56]
	v_add_f64_e64 v[53:54], v[59:60], -v[53:54]
	v_add_f64_e64 v[65:66], v[33:34], -v[73:74]
	;; [unrolled: 1-line block ×3, first 2 shown]
	v_fma_f64 v[75:76], v[61:62], 2.0, -v[67:68]
	v_fma_f64 v[107:108], v[63:64], 2.0, -v[105:106]
	v_add_f64_e64 v[49:50], v[69:70], -v[49:50]
	v_add_f64_e64 v[51:52], v[71:72], -v[51:52]
	v_fma_f64 v[61:62], v[57:58], 2.0, -v[55:56]
	v_fma_f64 v[57:58], v[59:60], 2.0, -v[53:54]
	v_fma_f64 v[59:60], v[55:56], s[18:19], v[67:68]
	v_fma_f64 v[63:64], v[53:54], s[18:19], v[105:106]
	v_fma_f64 v[109:110], v[33:34], 2.0, -v[65:66]
	v_fma_f64 v[111:112], v[35:36], 2.0, -v[73:74]
	;; [unrolled: 1-line block ×4, first 2 shown]
	v_fma_f64 v[113:114], v[61:62], s[16:17], v[75:76]
	v_fma_f64 v[115:116], v[57:58], s[16:17], v[107:108]
	v_add_f64_e32 v[33:34], v[65:66], v[51:52]
	v_add_f64_e64 v[35:36], v[73:74], -v[49:50]
	v_fma_f64 v[49:50], v[53:54], s[18:19], v[59:60]
	v_fma_f64 v[51:52], v[55:56], s[16:17], v[63:64]
	v_add_f64_e64 v[53:54], v[109:110], -v[69:70]
	v_add_f64_e64 v[55:56], v[111:112], -v[71:72]
	v_fma_f64 v[57:58], v[57:58], s[18:19], v[113:114]
	v_fma_f64 v[59:60], v[61:62], s[16:17], v[115:116]
	v_fma_f64 v[61:62], v[65:66], 2.0, -v[33:34]
	v_fma_f64 v[63:64], v[73:74], 2.0, -v[35:36]
	;; [unrolled: 1-line block ×4, first 2 shown]
	v_lshl_or_b32 v105, v95, 3, v95
	s_delay_alu instid0(VALU_DEP_1) | instskip(NEXT) | instid1(VALU_DEP_1)
	v_and_b32_e32 v105, 0x71, v105
	v_lshlrev_b32_e32 v105, 6, v105
	s_delay_alu instid0(VALU_DEP_1)
	v_add3_u32 v105, 0, v105, v94
	v_fma_f64 v[69:70], v[109:110], 2.0, -v[53:54]
	v_fma_f64 v[71:72], v[111:112], 2.0, -v[55:56]
	;; [unrolled: 1-line block ×4, first 2 shown]
	ds_store_b128 v105, v[61:64] offset:256
	ds_store_b128 v105, v[65:68] offset:384
	;; [unrolled: 1-line block ×4, first 2 shown]
	ds_store_b128 v105, v[69:72]
	ds_store_b128 v105, v[73:76] offset:128
	ds_store_b128 v105, v[33:36] offset:768
	;; [unrolled: 1-line block ×3, first 2 shown]
	s_and_saveexec_b32 s7, vcc_lo
	s_cbranch_execz .LBB0_6
; %bb.5:
	v_mul_f64_e32 v[33:34], v[17:18], v[39:40]
	v_mul_f64_e32 v[35:36], v[11:12], v[43:44]
	;; [unrolled: 1-line block ×14, first 2 shown]
	v_fma_f64 v[19:20], v[19:20], v[37:38], -v[33:34]
	v_fma_f64 v[9:10], v[9:10], v[41:42], v[35:36]
	v_fma_f64 v[25:26], v[25:26], v[77:78], v[49:50]
	v_fma_f64 v[3:4], v[3:4], v[45:46], -v[51:52]
	v_fma_f64 v[23:24], v[23:24], v[89:90], -v[53:54]
	v_fma_f64 v[5:6], v[5:6], v[81:82], v[55:56]
	v_fma_f64 v[29:30], v[29:30], v[85:86], v[57:58]
	;; [unrolled: 1-line block ×3, first 2 shown]
	v_fma_f64 v[11:12], v[11:12], v[41:42], -v[43:44]
	v_fma_f64 v[27:28], v[27:28], v[77:78], -v[59:60]
	v_fma_f64 v[21:22], v[21:22], v[89:90], v[61:62]
	v_fma_f64 v[17:18], v[17:18], v[37:38], v[39:40]
	v_fma_f64 v[7:8], v[7:8], v[81:82], -v[63:64]
	v_fma_f64 v[31:32], v[31:32], v[85:86], -v[65:66]
	v_add_f64_e64 v[19:20], v[15:16], -v[19:20]
	v_add_f64_e64 v[25:26], v[9:10], -v[25:26]
	;; [unrolled: 1-line block ×8, first 2 shown]
	v_fma_f64 v[15:16], v[15:16], 2.0, -v[19:20]
	v_add_f64_e64 v[33:34], v[19:20], -v[25:26]
	v_fma_f64 v[9:10], v[9:10], 2.0, -v[25:26]
	v_fma_f64 v[3:4], v[3:4], 2.0, -v[23:24]
	v_add_f64_e64 v[35:36], v[23:24], -v[29:30]
	v_fma_f64 v[5:6], v[5:6], 2.0, -v[29:30]
	v_fma_f64 v[11:12], v[11:12], 2.0, -v[27:28]
	;; [unrolled: 1-line block ×4, first 2 shown]
	v_add_f64_e32 v[27:28], v[17:18], v[27:28]
	v_fma_f64 v[7:8], v[7:8], 2.0, -v[31:32]
	v_add_f64_e32 v[25:26], v[21:22], v[31:32]
	v_fma_f64 v[31:32], v[19:20], 2.0, -v[33:34]
	v_fma_f64 v[19:20], v[23:24], 2.0, -v[35:36]
	v_add_f64_e64 v[29:30], v[15:16], -v[11:12]
	v_add_f64_e64 v[5:6], v[1:2], -v[5:6]
	;; [unrolled: 1-line block ×3, first 2 shown]
	v_fma_f64 v[39:40], v[17:18], 2.0, -v[27:28]
	v_add_f64_e64 v[11:12], v[3:4], -v[7:8]
	v_fma_f64 v[9:10], v[21:22], 2.0, -v[25:26]
	v_fma_f64 v[7:8], v[35:36], s[18:19], v[33:34]
	v_fma_f64 v[17:18], v[25:26], s[18:19], v[27:28]
	;; [unrolled: 1-line block ×3, first 2 shown]
	v_fma_f64 v[41:42], v[15:16], 2.0, -v[29:30]
	v_fma_f64 v[43:44], v[13:14], 2.0, -v[37:38]
	;; [unrolled: 1-line block ×4, first 2 shown]
	v_fma_f64 v[23:24], v[9:10], s[16:17], v[39:40]
	v_fma_f64 v[3:4], v[25:26], s[16:17], v[7:8]
	v_add_f64_e64 v[7:8], v[29:30], -v[5:6]
	v_add_f64_e32 v[5:6], v[37:38], v[11:12]
	v_fma_f64 v[1:2], v[35:36], s[18:19], v[17:18]
	v_fma_f64 v[11:12], v[9:10], s[16:17], v[21:22]
	v_add_f64_e64 v[13:14], v[43:44], -v[13:14]
	v_add_f64_e64 v[15:16], v[41:42], -v[15:16]
	v_fma_f64 v[9:10], v[19:20], s[18:19], v[23:24]
	v_fma_f64 v[19:20], v[33:34], 2.0, -v[3:4]
	v_fma_f64 v[23:24], v[29:30], 2.0, -v[7:8]
	;; [unrolled: 1-line block ×4, first 2 shown]
	v_lshlrev_b32_e32 v33, 3, v101
	s_delay_alu instid0(VALU_DEP_1) | instskip(NEXT) | instid1(VALU_DEP_1)
	v_and_or_b32 v0, 0xb0, v33, v0
	v_lshlrev_b32_e32 v0, 6, v0
	s_delay_alu instid0(VALU_DEP_1)
	v_add3_u32 v0, 0, v0, v94
	v_fma_f64 v[27:28], v[31:32], 2.0, -v[11:12]
	v_fma_f64 v[29:30], v[43:44], 2.0, -v[13:14]
	;; [unrolled: 1-line block ×4, first 2 shown]
	ds_store_b128 v0, v[21:24] offset:256
	ds_store_b128 v0, v[17:20] offset:384
	;; [unrolled: 1-line block ×4, first 2 shown]
	ds_store_b128 v0, v[29:32]
	ds_store_b128 v0, v[25:28] offset:128
	ds_store_b128 v0, v[5:8] offset:768
	;; [unrolled: 1-line block ×3, first 2 shown]
.LBB0_6:
	s_wait_alu 0xfffe
	s_or_b32 exec_lo, exec_lo, s7
	v_mul_u32_u24_e32 v0, 5, v95
	global_wb scope:SCOPE_SE
	s_wait_dscnt 0x0
	s_barrier_signal -1
	s_barrier_wait -1
	global_inv scope:SCOPE_SE
	v_lshlrev_b32_e32 v0, 4, v0
	v_lshlrev_b32_e32 v61, 6, v100
	s_mov_b32 s16, 0xe8584caa
	s_mov_b32 s17, 0xbfebb67a
	;; [unrolled: 1-line block ×3, first 2 shown]
	s_clause 0x4
	global_load_b128 v[3:6], v0, s[12:13] offset:256
	global_load_b128 v[7:10], v0, s[12:13] offset:288
	;; [unrolled: 1-line block ×5, first 2 shown]
	ds_load_b128 v[23:26], v102 offset:6144
	ds_load_b128 v[27:30], v102 offset:10240
	;; [unrolled: 1-line block ×6, first 2 shown]
	v_lshlrev_b32_e32 v0, 6, v99
	s_wait_alu 0xfffe
	s_mov_b32 s18, s16
	s_mul_u64 s[8:9], s[8:9], s[14:15]
	s_mul_u64 s[10:11], s[10:11], s[2:3]
	s_lshl_b64 s[8:9], s[8:9], 4
	v_add3_u32 v0, 0, v0, v94
	s_add_nc_u64 s[0:1], s[0:1], s[8:9]
	s_mul_i32 s2, s6, 0x60
	ds_load_b128 v[47:50], v0
	ds_load_b128 v[51:54], v102 offset:3072
	s_wait_loadcnt_dscnt 0x407
	v_mul_f64_e32 v[1:2], v[23:24], v[5:6]
	s_wait_loadcnt_dscnt 0x306
	v_mul_f64_e32 v[55:56], v[27:28], v[9:10]
	s_wait_dscnt 0x5
	v_mul_f64_e32 v[57:58], v[31:32], v[5:6]
	s_wait_dscnt 0x4
	v_mul_f64_e32 v[59:60], v[35:36], v[9:10]
	s_wait_loadcnt_dscnt 0x201
	v_mul_f64_e32 v[67:68], v[47:48], v[13:14]
	v_mul_f64_e32 v[69:70], v[25:26], v[5:6]
	;; [unrolled: 1-line block ×3, first 2 shown]
	s_wait_dscnt 0x0
	v_mul_f64_e32 v[73:74], v[51:52], v[13:14]
	v_mul_f64_e32 v[5:6], v[33:34], v[5:6]
	v_mul_f64_e32 v[9:10], v[37:38], v[9:10]
	v_mul_f64_e32 v[75:76], v[49:50], v[13:14]
	v_mul_f64_e32 v[13:14], v[53:54], v[13:14]
	v_fma_f64 v[25:26], v[25:26], v[3:4], -v[1:2]
	v_fma_f64 v[29:30], v[29:30], v[7:8], -v[55:56]
	;; [unrolled: 1-line block ×4, first 2 shown]
	v_add3_u32 v1, 0, v61, v94
	ds_load_b128 v[55:58], v1
	ds_load_b128 v[59:62], v102 offset:8192
	v_fma_f64 v[23:24], v[23:24], v[3:4], v[69:70]
	v_fma_f64 v[27:28], v[27:28], v[7:8], v[71:72]
	v_fma_f64 v[49:50], v[49:50], v[11:12], -v[67:68]
	s_wait_loadcnt 0x1
	v_mul_f64_e32 v[69:70], v[41:42], v[17:18]
	s_wait_loadcnt 0x0
	v_mul_f64_e32 v[71:72], v[45:46], v[21:22]
	v_fma_f64 v[31:32], v[31:32], v[3:4], v[5:6]
	v_fma_f64 v[7:8], v[35:36], v[7:8], v[9:10]
	v_fma_f64 v[9:10], v[53:54], v[11:12], -v[73:74]
	v_fma_f64 v[47:48], v[47:48], v[11:12], v[75:76]
	v_fma_f64 v[11:12], v[51:52], v[11:12], v[13:14]
	v_add3_u32 v2, 0, v104, v94
	ds_load_b128 v[63:66], v2
	s_wait_dscnt 0x2
	v_mul_f64_e32 v[77:78], v[57:58], v[17:18]
	v_mul_f64_e32 v[79:80], v[55:56], v[17:18]
	s_wait_dscnt 0x1
	v_mul_f64_e32 v[81:82], v[61:62], v[21:22]
	v_mul_f64_e32 v[83:84], v[59:60], v[21:22]
	;; [unrolled: 1-line block ×4, first 2 shown]
	v_add_f64_e32 v[67:68], v[25:26], v[29:30]
	v_add_f64_e64 v[51:52], v[25:26], -v[29:30]
	v_add_f64_e32 v[3:4], v[33:34], v[37:38]
	v_add_f64_e64 v[73:74], v[33:34], -v[37:38]
	v_add_f64_e32 v[5:6], v[23:24], v[27:28]
	v_add_f64_e32 v[25:26], v[49:50], v[25:26]
	v_fma_f64 v[39:40], v[39:40], v[15:16], v[69:70]
	v_add_f64_e32 v[13:14], v[31:32], v[7:8]
	v_fma_f64 v[35:36], v[55:56], v[15:16], v[77:78]
	v_fma_f64 v[53:54], v[57:58], v[15:16], -v[79:80]
	v_fma_f64 v[55:56], v[59:60], v[19:20], v[81:82]
	v_fma_f64 v[57:58], v[61:62], v[19:20], -v[83:84]
	v_add_f64_e64 v[59:60], v[23:24], -v[27:28]
	v_fma_f64 v[15:16], v[41:42], v[15:16], -v[17:18]
	v_fma_f64 v[17:18], v[43:44], v[19:20], v[71:72]
	v_fma_f64 v[19:20], v[45:46], v[19:20], -v[21:22]
	v_add_f64_e64 v[21:22], v[31:32], -v[7:8]
	v_add_f64_e32 v[23:24], v[47:48], v[23:24]
	v_lshlrev_b32_e32 v79, 6, v98
	v_fma_f64 v[61:62], v[67:68], -0.5, v[49:50]
	v_fma_f64 v[41:42], v[3:4], -0.5, v[9:10]
	v_add_f64_e32 v[9:10], v[9:10], v[33:34]
	s_delay_alu instid0(VALU_DEP_4)
	v_add3_u32 v82, 0, v79, v94
	v_fma_f64 v[67:68], v[5:6], -0.5, v[47:48]
	ds_load_b128 v[3:6], v102
	s_wait_dscnt 0x1
	v_add_f64_e32 v[47:48], v[63:64], v[39:40]
	v_add_f64_e32 v[25:26], v[25:26], v[29:30]
	global_wb scope:SCOPE_SE
	s_wait_dscnt 0x0
	v_fma_f64 v[13:14], v[13:14], -0.5, v[11:12]
	v_add_f64_e32 v[11:12], v[11:12], v[31:32]
	s_barrier_signal -1
	s_barrier_wait -1
	global_inv scope:SCOPE_SE
	v_add_f64_e32 v[43:44], v[35:36], v[55:56]
	v_add_f64_e32 v[45:46], v[53:54], v[57:58]
	v_add_f64_e64 v[77:78], v[53:54], -v[57:58]
	v_add_f64_e32 v[53:54], v[5:6], v[53:54]
	v_add_f64_e32 v[71:72], v[15:16], v[19:20]
	v_add_f64_e64 v[49:50], v[15:16], -v[19:20]
	v_add_f64_e32 v[15:16], v[65:66], v[15:16]
	v_add_f64_e32 v[23:24], v[23:24], v[27:28]
	s_wait_alu 0xfffe
	v_fma_f64 v[69:70], v[59:60], s[18:19], v[61:62]
	v_fma_f64 v[59:60], v[59:60], s[16:17], v[61:62]
	v_add_f64_e32 v[61:62], v[39:40], v[17:18]
	v_fma_f64 v[75:76], v[21:22], s[18:19], v[41:42]
	v_fma_f64 v[21:22], v[21:22], s[16:17], v[41:42]
	v_add_f64_e32 v[41:42], v[3:4], v[35:36]
	v_add_f64_e64 v[35:36], v[35:36], -v[55:56]
	v_add_f64_e64 v[39:40], v[39:40], -v[17:18]
	v_add_f64_e32 v[27:28], v[9:10], v[37:38]
	v_fma_f64 v[31:32], v[51:52], s[16:17], v[67:68]
	v_fma_f64 v[33:34], v[51:52], s[18:19], v[67:68]
	v_add_f64_e32 v[17:18], v[47:48], v[17:18]
	v_fma_f64 v[3:4], v[43:44], -0.5, v[3:4]
	v_fma_f64 v[5:6], v[45:46], -0.5, v[5:6]
	v_add_f64_e32 v[53:54], v[53:54], v[57:58]
	v_add_f64_e32 v[19:20], v[15:16], v[19:20]
	v_add_f64_e32 v[15:16], v[11:12], v[7:8]
	v_mul_f64_e32 v[43:44], s[16:17], v[69:70]
	v_mul_f64_e32 v[51:52], 0.5, v[69:70]
	v_mul_f64_e32 v[45:46], s[16:17], v[59:60]
	v_mul_f64_e32 v[59:60], -0.5, v[59:60]
	v_fma_f64 v[61:62], v[61:62], -0.5, v[63:64]
	v_fma_f64 v[63:64], v[71:72], -0.5, v[65:66]
	v_fma_f64 v[65:66], v[73:74], s[16:17], v[13:14]
	v_mul_f64_e32 v[67:68], s[16:17], v[75:76]
	v_mul_f64_e32 v[71:72], 0.5, v[75:76]
	v_fma_f64 v[13:14], v[73:74], s[18:19], v[13:14]
	v_mul_f64_e32 v[69:70], s[16:17], v[21:22]
	v_mul_f64_e32 v[21:22], -0.5, v[21:22]
	v_add_f64_e32 v[41:42], v[41:42], v[55:56]
	v_mul_lo_u32 v73, v95, s6
	v_mov_b32_e32 v74, 0
	s_delay_alu instid0(VALU_DEP_1)
	v_lshlrev_b64_e32 v[75:76], 4, v[73:74]
	v_fma_f64 v[29:30], v[77:78], s[16:17], v[3:4]
	v_fma_f64 v[47:48], v[35:36], s[18:19], v[5:6]
	;; [unrolled: 1-line block ×4, first 2 shown]
	v_add_f64_e32 v[5:6], v[53:54], v[25:26]
	v_add_f64_e64 v[9:10], v[53:54], -v[25:26]
	v_mul_u32_u24_e32 v53, 0x2ab, v98
	v_lshlrev_b32_e32 v54, 4, v95
	v_add_f64_e32 v[11:12], v[17:18], v[15:16]
	v_fma_f64 v[43:44], v[31:32], 0.5, v[43:44]
	v_fma_f64 v[51:52], v[31:32], s[18:19], v[51:52]
	v_fma_f64 v[45:46], v[33:34], -0.5, v[45:46]
	v_fma_f64 v[33:34], v[33:34], s[18:19], v[59:60]
	v_fma_f64 v[55:56], v[49:50], s[16:17], v[61:62]
	;; [unrolled: 1-line block ×4, first 2 shown]
	v_fma_f64 v[61:62], v[65:66], 0.5, v[67:68]
	v_fma_f64 v[65:66], v[65:66], s[18:19], v[71:72]
	v_fma_f64 v[59:60], v[39:40], s[16:17], v[63:64]
	v_fma_f64 v[63:64], v[13:14], -0.5, v[69:70]
	v_fma_f64 v[67:68], v[13:14], s[18:19], v[21:22]
	v_add_f64_e32 v[3:4], v[41:42], v[23:24]
	v_add_f64_e32 v[13:14], v[19:20], v[27:28]
	v_add_f64_e64 v[15:16], v[17:18], -v[15:16]
	v_add_f64_e64 v[17:18], v[19:20], -v[27:28]
	;; [unrolled: 1-line block ×3, first 2 shown]
	v_lshrrev_b32_e32 v53, 16, v53
	v_mad_co_u64_u32 v[71:72], null, s4, v93, 0
	s_delay_alu instid0(VALU_DEP_2) | instskip(NEXT) | instid1(VALU_DEP_2)
	v_mul_lo_u16 v53, 0x60, v53
	v_mad_co_u64_u32 v[77:78], null, s5, v93, v[72:73]
	s_delay_alu instid0(VALU_DEP_2) | instskip(SKIP_1) | instid1(VALU_DEP_2)
	v_sub_nc_u16 v53, v98, v53
	v_add_nc_u32_e32 v73, s2, v73
	v_and_b32_e32 v81, 0xffff, v53
	s_delay_alu instid0(VALU_DEP_2)
	v_lshlrev_b64_e32 v[78:79], 4, v[73:74]
	v_mul_lo_u32 v73, v101, s6
	v_mov_b32_e32 v72, v77
	v_add_f64_e32 v[19:20], v[29:30], v[43:44]
	v_add_f64_e32 v[21:22], v[47:48], v[51:52]
	;; [unrolled: 1-line block ×4, first 2 shown]
	v_add_f64_e64 v[27:28], v[29:30], -v[43:44]
	v_add_f64_e64 v[29:30], v[47:48], -v[51:52]
	;; [unrolled: 1-line block ×4, first 2 shown]
	v_add_f64_e32 v[35:36], v[55:56], v[61:62]
	v_add_f64_e32 v[37:38], v[57:58], v[65:66]
	;; [unrolled: 1-line block ×4, first 2 shown]
	v_add_f64_e64 v[43:44], v[55:56], -v[61:62]
	v_add_f64_e64 v[45:46], v[57:58], -v[65:66]
	;; [unrolled: 1-line block ×4, first 2 shown]
	v_mul_u32_u24_e32 v52, 0x2ab, v100
	v_lshrrev_b32_e32 v51, 4, v101
	v_lshlrev_b32_e32 v55, 4, v101
	v_lshlrev_b32_e32 v56, 4, v99
	s_delay_alu instid0(VALU_DEP_4) | instskip(NEXT) | instid1(VALU_DEP_4)
	v_lshrrev_b32_e32 v52, 16, v52
	v_mul_u32_u24_e32 v51, 0x60, v51
	s_delay_alu instid0(VALU_DEP_2) | instskip(NEXT) | instid1(VALU_DEP_2)
	v_mul_lo_u16 v52, 0x60, v52
	v_or_b32_e32 v51, v51, v95
	s_delay_alu instid0(VALU_DEP_2) | instskip(NEXT) | instid1(VALU_DEP_2)
	v_sub_nc_u16 v52, v100, v52
	v_lshlrev_b32_e32 v51, 6, v51
	s_delay_alu instid0(VALU_DEP_2) | instskip(NEXT) | instid1(VALU_DEP_2)
	v_and_b32_e32 v80, 0xffff, v52
	v_add3_u32 v51, 0, v51, v94
	ds_store_b128 v96, v[3:6]
	ds_store_b128 v96, v[19:22] offset:1024
	ds_store_b128 v96, v[23:26] offset:2048
	;; [unrolled: 1-line block ×5, first 2 shown]
	ds_store_b128 v51, v[11:14]
	ds_store_b128 v51, v[35:38] offset:1024
	ds_store_b128 v51, v[39:42] offset:2048
	;; [unrolled: 1-line block ×5, first 2 shown]
	global_wb scope:SCOPE_SE
	s_wait_dscnt 0x0
	s_barrier_signal -1
	s_barrier_wait -1
	global_inv scope:SCOPE_SE
	s_clause 0x1
	global_load_b128 v[3:6], v54, s[12:13] offset:1504
	global_load_b128 v[7:10], v55, s[12:13] offset:1504
	v_lshlrev_b32_e32 v15, 4, v97
	v_lshlrev_b32_e32 v19, 4, v80
	global_load_b128 v[11:14], v56, s[12:13] offset:1504
	v_lshlrev_b32_e32 v23, 4, v81
	s_clause 0x2
	global_load_b128 v[15:18], v15, s[12:13] offset:1504
	global_load_b128 v[19:22], v19, s[12:13] offset:1504
	;; [unrolled: 1-line block ×3, first 2 shown]
	ds_load_b128 v[27:30], v102 offset:6144
	ds_load_b128 v[31:34], v102 offset:7168
	ds_load_b128 v[35:38], v102 offset:8192
	ds_load_b128 v[39:42], v102 offset:9216
	ds_load_b128 v[43:46], v102 offset:10240
	ds_load_b128 v[47:50], v102 offset:11264
	ds_load_b128 v[51:54], v102
	ds_load_b128 v[55:58], v103
	s_mul_u64 s[12:13], s[4:5], s[24:25]
	s_lshl_b64 s[4:5], s[10:11], 4
	s_lshl_b64 s[12:13], s[12:13], 4
	s_delay_alu instid0(SALU_CYCLE_1)
	s_add_nc_u64 s[0:1], s[0:1], s[12:13]
	s_wait_alu 0xfffe
	s_add_nc_u64 s[0:1], s[4:5], s[0:1]
	s_wait_loadcnt_dscnt 0x507
	v_mul_f64_e32 v[59:60], v[29:30], v[5:6]
	v_mul_f64_e32 v[5:6], v[27:28], v[5:6]
	s_wait_loadcnt_dscnt 0x406
	v_mul_f64_e32 v[61:62], v[33:34], v[9:10]
	v_mul_f64_e32 v[9:10], v[31:32], v[9:10]
	;; [unrolled: 3-line block ×6, first 2 shown]
	v_fma_f64 v[27:28], v[27:28], v[3:4], v[59:60]
	v_fma_f64 v[29:30], v[29:30], v[3:4], -v[5:6]
	v_fma_f64 v[31:32], v[31:32], v[7:8], v[61:62]
	v_fma_f64 v[33:34], v[33:34], v[7:8], -v[9:10]
	;; [unrolled: 2-line block ×6, first 2 shown]
	v_sub_nc_u32_e32 v6, v100, v80
	ds_load_b128 v[2:5], v2
	v_sub_nc_u32_e32 v10, v98, v81
	v_lshlrev_b64_e32 v[18:19], 4, v[71:72]
	v_lshlrev_b64_e32 v[59:60], 4, v[73:74]
	v_add_nc_u32_e32 v77, v6, v100
	ds_load_b128 v[6:9], v0
	v_add_nc_u32_e32 v80, v10, v98
	ds_load_b128 v[10:13], v1
	ds_load_b128 v[14:17], v82
	v_add_co_u32 v81, vcc_lo, s0, v18
	s_wait_alu 0xfffd
	v_add_co_ci_u32_e32 v82, vcc_lo, s1, v19, vcc_lo
	v_add_nc_u32_e32 v73, s2, v73
	s_delay_alu instid0(VALU_DEP_3) | instskip(SKIP_1) | instid1(VALU_DEP_3)
	v_add_co_u32 v63, vcc_lo, v81, v75
	s_wait_alu 0xfffd
	v_add_co_ci_u32_e32 v64, vcc_lo, v82, v76, vcc_lo
	s_delay_alu instid0(VALU_DEP_3)
	v_lshlrev_b64_e32 v[61:62], 4, v[73:74]
	v_mul_lo_u32 v73, v99, s6
	v_add_co_u32 v67, vcc_lo, v81, v78
	s_wait_alu 0xfffd
	v_add_co_ci_u32_e32 v68, vcc_lo, v82, v79, vcc_lo
	v_add_co_u32 v59, vcc_lo, v81, v59
	s_wait_dscnt 0x5
	v_add_f64_e64 v[18:19], v[51:52], -v[27:28]
	v_add_f64_e64 v[20:21], v[53:54], -v[29:30]
	s_wait_dscnt 0x3
	v_add_f64_e64 v[22:23], v[2:3], -v[31:32]
	v_add_f64_e64 v[24:25], v[4:5], -v[33:34]
	;; [unrolled: 3-line block ×3, first 2 shown]
	v_add_f64_e64 v[30:31], v[55:56], -v[39:40]
	v_add_f64_e64 v[32:33], v[57:58], -v[41:42]
	s_wait_dscnt 0x1
	v_add_f64_e64 v[34:35], v[10:11], -v[43:44]
	v_add_f64_e64 v[36:37], v[12:13], -v[45:46]
	s_wait_dscnt 0x0
	v_add_f64_e64 v[38:39], v[14:15], -v[47:48]
	v_add_f64_e64 v[40:41], v[16:17], -v[49:50]
	v_lshlrev_b64_e32 v[0:1], 4, v[73:74]
	v_add_nc_u32_e32 v73, s2, v73
	s_wait_alu 0xfffd
	v_add_co_ci_u32_e32 v60, vcc_lo, v82, v60, vcc_lo
	v_add_co_u32 v61, vcc_lo, v81, v61
	s_delay_alu instid0(VALU_DEP_3)
	v_lshlrev_b64_e32 v[65:66], 4, v[73:74]
	v_mul_lo_u32 v73, v97, s6
	s_wait_alu 0xfffd
	v_add_co_ci_u32_e32 v62, vcc_lo, v82, v62, vcc_lo
	v_add_co_u32 v75, vcc_lo, v81, v0
	s_wait_alu 0xfffd
	v_add_co_ci_u32_e32 v76, vcc_lo, v82, v1, vcc_lo
	v_add_co_u32 v65, vcc_lo, v81, v65
	v_lshlrev_b64_e32 v[69:70], 4, v[73:74]
	v_add_nc_u32_e32 v73, s2, v73
	s_wait_alu 0xfffd
	v_add_co_ci_u32_e32 v66, vcc_lo, v82, v66, vcc_lo
	s_delay_alu instid0(VALU_DEP_2)
	v_lshlrev_b64_e32 v[71:72], 4, v[73:74]
	v_mul_lo_u32 v73, v77, s6
	v_fma_f64 v[42:43], v[51:52], 2.0, -v[18:19]
	v_fma_f64 v[44:45], v[53:54], 2.0, -v[20:21]
	;; [unrolled: 1-line block ×12, first 2 shown]
	v_lshlrev_b64_e32 v[77:78], 4, v[73:74]
	v_add_nc_u32_e32 v73, s2, v73
	v_add_co_u32 v16, vcc_lo, v81, v69
	s_wait_alu 0xfffd
	v_add_co_ci_u32_e32 v17, vcc_lo, v82, v70, vcc_lo
	s_delay_alu instid0(VALU_DEP_3)
	v_lshlrev_b64_e32 v[50:51], 4, v[73:74]
	v_mul_lo_u32 v73, v80, s6
	v_add_co_u32 v52, vcc_lo, v81, v71
	s_wait_alu 0xfffd
	v_add_co_ci_u32_e32 v53, vcc_lo, v82, v72, vcc_lo
	v_add_co_u32 v54, vcc_lo, v81, v77
	s_wait_alu 0xfffd
	v_add_co_ci_u32_e32 v55, vcc_lo, v82, v78, vcc_lo
	v_lshlrev_b64_e32 v[56:57], 4, v[73:74]
	v_add_nc_u32_e32 v73, s2, v73
	v_add_co_u32 v50, vcc_lo, v81, v50
	s_wait_alu 0xfffd
	v_add_co_ci_u32_e32 v51, vcc_lo, v82, v51, vcc_lo
	s_delay_alu instid0(VALU_DEP_3) | instskip(SKIP_3) | instid1(VALU_DEP_3)
	v_lshlrev_b64_e32 v[69:70], 4, v[73:74]
	v_add_co_u32 v56, vcc_lo, v81, v56
	s_wait_alu 0xfffd
	v_add_co_ci_u32_e32 v57, vcc_lo, v82, v57, vcc_lo
	v_add_co_u32 v69, vcc_lo, v81, v69
	s_wait_alu 0xfffd
	v_add_co_ci_u32_e32 v70, vcc_lo, v82, v70, vcc_lo
	s_clause 0xb
	global_store_b128 v[63:64], v[42:45], off
	global_store_b128 v[67:68], v[18:21], off
	;; [unrolled: 1-line block ×12, first 2 shown]
	s_nop 0
	s_sendmsg sendmsg(MSG_DEALLOC_VGPRS)
	s_endpgm
	.section	.rodata,"a",@progbits
	.p2align	6, 0x0
	.amdhsa_kernel fft_rtc_back_len192_factors_2_8_6_2_wgs_64_tpt_16_dim3_dp_op_CI_CI_sbrc_aligned_dirReg
		.amdhsa_group_segment_fixed_size 0
		.amdhsa_private_segment_fixed_size 0
		.amdhsa_kernarg_size 96
		.amdhsa_user_sgpr_count 2
		.amdhsa_user_sgpr_dispatch_ptr 0
		.amdhsa_user_sgpr_queue_ptr 0
		.amdhsa_user_sgpr_kernarg_segment_ptr 1
		.amdhsa_user_sgpr_dispatch_id 0
		.amdhsa_user_sgpr_private_segment_size 0
		.amdhsa_wavefront_size32 1
		.amdhsa_uses_dynamic_stack 0
		.amdhsa_enable_private_segment 0
		.amdhsa_system_sgpr_workgroup_id_x 1
		.amdhsa_system_sgpr_workgroup_id_y 0
		.amdhsa_system_sgpr_workgroup_id_z 0
		.amdhsa_system_sgpr_workgroup_info 0
		.amdhsa_system_vgpr_workitem_id 0
		.amdhsa_next_free_vgpr 133
		.amdhsa_next_free_sgpr 32
		.amdhsa_reserve_vcc 1
		.amdhsa_float_round_mode_32 0
		.amdhsa_float_round_mode_16_64 0
		.amdhsa_float_denorm_mode_32 3
		.amdhsa_float_denorm_mode_16_64 3
		.amdhsa_fp16_overflow 0
		.amdhsa_workgroup_processor_mode 1
		.amdhsa_memory_ordered 1
		.amdhsa_forward_progress 0
		.amdhsa_round_robin_scheduling 0
		.amdhsa_exception_fp_ieee_invalid_op 0
		.amdhsa_exception_fp_denorm_src 0
		.amdhsa_exception_fp_ieee_div_zero 0
		.amdhsa_exception_fp_ieee_overflow 0
		.amdhsa_exception_fp_ieee_underflow 0
		.amdhsa_exception_fp_ieee_inexact 0
		.amdhsa_exception_int_div_zero 0
	.end_amdhsa_kernel
	.text
.Lfunc_end0:
	.size	fft_rtc_back_len192_factors_2_8_6_2_wgs_64_tpt_16_dim3_dp_op_CI_CI_sbrc_aligned_dirReg, .Lfunc_end0-fft_rtc_back_len192_factors_2_8_6_2_wgs_64_tpt_16_dim3_dp_op_CI_CI_sbrc_aligned_dirReg
                                        ; -- End function
	.section	.AMDGPU.csdata,"",@progbits
; Kernel info:
; codeLenInByte = 7496
; NumSgprs: 34
; NumVgprs: 133
; ScratchSize: 0
; MemoryBound: 0
; FloatMode: 240
; IeeeMode: 1
; LDSByteSize: 0 bytes/workgroup (compile time only)
; SGPRBlocks: 4
; VGPRBlocks: 16
; NumSGPRsForWavesPerEU: 34
; NumVGPRsForWavesPerEU: 133
; Occupancy: 10
; WaveLimiterHint : 1
; COMPUTE_PGM_RSRC2:SCRATCH_EN: 0
; COMPUTE_PGM_RSRC2:USER_SGPR: 2
; COMPUTE_PGM_RSRC2:TRAP_HANDLER: 0
; COMPUTE_PGM_RSRC2:TGID_X_EN: 1
; COMPUTE_PGM_RSRC2:TGID_Y_EN: 0
; COMPUTE_PGM_RSRC2:TGID_Z_EN: 0
; COMPUTE_PGM_RSRC2:TIDIG_COMP_CNT: 0
	.text
	.p2alignl 7, 3214868480
	.fill 96, 4, 3214868480
	.type	__hip_cuid_a8c0bb1348c43a18,@object ; @__hip_cuid_a8c0bb1348c43a18
	.section	.bss,"aw",@nobits
	.globl	__hip_cuid_a8c0bb1348c43a18
__hip_cuid_a8c0bb1348c43a18:
	.byte	0                               ; 0x0
	.size	__hip_cuid_a8c0bb1348c43a18, 1

	.ident	"AMD clang version 19.0.0git (https://github.com/RadeonOpenCompute/llvm-project roc-6.4.0 25133 c7fe45cf4b819c5991fe208aaa96edf142730f1d)"
	.section	".note.GNU-stack","",@progbits
	.addrsig
	.addrsig_sym __hip_cuid_a8c0bb1348c43a18
	.amdgpu_metadata
---
amdhsa.kernels:
  - .args:
      - .actual_access:  read_only
        .address_space:  global
        .offset:         0
        .size:           8
        .value_kind:     global_buffer
      - .actual_access:  read_only
        .address_space:  global
        .offset:         8
        .size:           8
        .value_kind:     global_buffer
      - .actual_access:  read_only
        .address_space:  global
        .offset:         16
        .size:           8
        .value_kind:     global_buffer
      - .actual_access:  read_only
        .address_space:  global
        .offset:         24
        .size:           8
        .value_kind:     global_buffer
      - .offset:         32
        .size:           8
        .value_kind:     by_value
      - .actual_access:  read_only
        .address_space:  global
        .offset:         40
        .size:           8
        .value_kind:     global_buffer
      - .actual_access:  read_only
        .address_space:  global
        .offset:         48
        .size:           8
        .value_kind:     global_buffer
      - .offset:         56
        .size:           4
        .value_kind:     by_value
      - .actual_access:  read_only
        .address_space:  global
        .offset:         64
        .size:           8
        .value_kind:     global_buffer
      - .actual_access:  read_only
        .address_space:  global
        .offset:         72
        .size:           8
        .value_kind:     global_buffer
      - .actual_access:  read_only
        .address_space:  global
        .offset:         80
        .size:           8
        .value_kind:     global_buffer
      - .actual_access:  write_only
        .address_space:  global
        .offset:         88
        .size:           8
        .value_kind:     global_buffer
    .group_segment_fixed_size: 0
    .kernarg_segment_align: 8
    .kernarg_segment_size: 96
    .language:       OpenCL C
    .language_version:
      - 2
      - 0
    .max_flat_workgroup_size: 64
    .name:           fft_rtc_back_len192_factors_2_8_6_2_wgs_64_tpt_16_dim3_dp_op_CI_CI_sbrc_aligned_dirReg
    .private_segment_fixed_size: 0
    .sgpr_count:     34
    .sgpr_spill_count: 0
    .symbol:         fft_rtc_back_len192_factors_2_8_6_2_wgs_64_tpt_16_dim3_dp_op_CI_CI_sbrc_aligned_dirReg.kd
    .uniform_work_group_size: 1
    .uses_dynamic_stack: false
    .vgpr_count:     133
    .vgpr_spill_count: 0
    .wavefront_size: 32
    .workgroup_processor_mode: 1
amdhsa.target:   amdgcn-amd-amdhsa--gfx1201
amdhsa.version:
  - 1
  - 2
...

	.end_amdgpu_metadata
